;; amdgpu-corpus repo=ROCm/rocFFT kind=compiled arch=gfx906 opt=O3
	.text
	.amdgcn_target "amdgcn-amd-amdhsa--gfx906"
	.amdhsa_code_object_version 6
	.protected	bluestein_single_back_len231_dim1_sp_op_CI_CI ; -- Begin function bluestein_single_back_len231_dim1_sp_op_CI_CI
	.globl	bluestein_single_back_len231_dim1_sp_op_CI_CI
	.p2align	8
	.type	bluestein_single_back_len231_dim1_sp_op_CI_CI,@function
bluestein_single_back_len231_dim1_sp_op_CI_CI: ; @bluestein_single_back_len231_dim1_sp_op_CI_CI
; %bb.0:
	v_mul_u32_u24_e32 v1, 0x7c2, v0
	s_load_dwordx4 s[0:3], s[4:5], 0x28
	v_lshrrev_b32_e32 v1, 16, v1
	v_mad_u64_u32 v[44:45], s[6:7], s6, 7, v[1:2]
	v_mov_b32_e32 v45, 0
	s_waitcnt lgkmcnt(0)
	v_cmp_gt_u64_e32 vcc, s[0:1], v[44:45]
	s_and_saveexec_b64 s[0:1], vcc
	s_cbranch_execz .LBB0_23
; %bb.1:
	s_mov_b32 s0, 0x24924925
	v_mul_hi_u32 v2, v44, s0
	s_load_dwordx2 s[6:7], s[4:5], 0x0
	s_load_dwordx2 s[12:13], s[4:5], 0x38
	v_mul_lo_u16_e32 v1, 33, v1
	v_sub_u16_e32 v52, v0, v1
	v_sub_u32_e32 v3, v44, v2
	v_lshrrev_b32_e32 v3, 1, v3
	v_add_u32_e32 v2, v3, v2
	v_lshrrev_b32_e32 v2, 2, v2
	v_mul_lo_u32 v2, v2, 7
	v_cmp_gt_u16_e64 s[0:1], 21, v52
	v_lshlrev_b32_e32 v51, 3, v52
	v_sub_u32_e32 v0, v44, v2
	v_mul_u32_u24_e32 v53, 0xe7, v0
	v_lshlrev_b32_e32 v54, 3, v53
	s_and_saveexec_b64 s[14:15], s[0:1]
	s_cbranch_execz .LBB0_3
; %bb.2:
	s_load_dwordx2 s[8:9], s[4:5], 0x18
	s_waitcnt lgkmcnt(0)
	s_load_dwordx4 s[8:11], s[8:9], 0x0
	s_waitcnt lgkmcnt(0)
	v_mad_u64_u32 v[0:1], s[16:17], s10, v44, 0
	v_mad_u64_u32 v[2:3], s[16:17], s8, v52, 0
	;; [unrolled: 1-line block ×4, first 2 shown]
	v_mov_b32_e32 v1, v4
	v_lshlrev_b64 v[0:1], 3, v[0:1]
	v_mov_b32_e32 v3, v5
	v_mov_b32_e32 v6, s3
	v_lshlrev_b64 v[2:3], 3, v[2:3]
	v_add_co_u32_e32 v0, vcc, s2, v0
	v_addc_co_u32_e32 v1, vcc, v6, v1, vcc
	v_add_co_u32_e32 v0, vcc, v0, v2
	s_mul_i32 s2, s9, 0xa8
	s_mul_hi_u32 s3, s8, 0xa8
	v_addc_co_u32_e32 v1, vcc, v1, v3, vcc
	s_mulk_i32 s8, 0xa8
	s_add_i32 s2, s3, s2
	v_mov_b32_e32 v3, s2
	v_add_co_u32_e32 v2, vcc, s8, v0
	v_addc_co_u32_e32 v3, vcc, v1, v3, vcc
	v_mov_b32_e32 v5, s2
	v_add_co_u32_e32 v4, vcc, s8, v2
	v_addc_co_u32_e32 v5, vcc, v3, v5, vcc
	global_load_dwordx2 v[6:7], v[0:1], off
	global_load_dwordx2 v[8:9], v[2:3], off
	;; [unrolled: 1-line block ×3, first 2 shown]
	global_load_dwordx2 v[12:13], v51, s[6:7]
	global_load_dwordx2 v[14:15], v51, s[6:7] offset:168
	global_load_dwordx2 v[16:17], v51, s[6:7] offset:336
	;; [unrolled: 1-line block ×9, first 2 shown]
	v_mov_b32_e32 v1, s2
	v_add_co_u32_e32 v0, vcc, s8, v4
	v_addc_co_u32_e32 v1, vcc, v5, v1, vcc
	v_mov_b32_e32 v32, s2
	global_load_dwordx2 v[2:3], v[0:1], off
	v_add_co_u32_e32 v0, vcc, s8, v0
	v_addc_co_u32_e32 v1, vcc, v1, v32, vcc
	v_mov_b32_e32 v33, s2
	v_add_co_u32_e32 v4, vcc, s8, v0
	v_addc_co_u32_e32 v5, vcc, v1, v33, vcc
	v_mov_b32_e32 v36, s2
	global_load_dwordx2 v[32:33], v[0:1], off
	global_load_dwordx2 v[34:35], v[4:5], off
	v_add_co_u32_e32 v0, vcc, s8, v4
	v_addc_co_u32_e32 v1, vcc, v5, v36, vcc
	v_mov_b32_e32 v37, s2
	global_load_dwordx2 v[4:5], v[0:1], off
	v_add_co_u32_e32 v0, vcc, s8, v0
	v_addc_co_u32_e32 v1, vcc, v1, v37, vcc
	v_mov_b32_e32 v38, s2
	;; [unrolled: 4-line block ×4, first 2 shown]
	global_load_dwordx2 v[40:41], v[0:1], off
	v_add_co_u32_e32 v0, vcc, s8, v0
	v_addc_co_u32_e32 v1, vcc, v1, v42, vcc
	global_load_dwordx2 v[42:43], v51, s[6:7] offset:1680
	global_load_dwordx2 v[45:46], v[0:1], off
	s_waitcnt vmcnt(18)
	v_mul_f32_e32 v0, v7, v13
	v_mul_f32_e32 v1, v6, v13
	v_fmac_f32_e32 v0, v6, v12
	s_waitcnt vmcnt(17)
	v_mul_f32_e32 v6, v8, v15
	v_fma_f32 v1, v7, v12, -v1
	v_fma_f32 v7, v9, v14, -v6
	v_mul_f32_e32 v6, v9, v15
	v_fmac_f32_e32 v6, v8, v14
	s_waitcnt vmcnt(16)
	v_mul_f32_e32 v8, v10, v17
	v_fma_f32 v9, v11, v16, -v8
	v_mul_f32_e32 v8, v11, v17
	v_fmac_f32_e32 v8, v10, v16
	v_lshl_add_u32 v10, v52, 3, v54
	ds_write_b64 v10, v[0:1]
	v_add_u32_e32 v10, v54, v51
	ds_write2_b64 v10, v[6:7], v[8:9] offset0:21 offset1:42
	s_waitcnt vmcnt(8)
	v_mul_f32_e32 v0, v3, v19
	v_mul_f32_e32 v1, v2, v19
	v_fmac_f32_e32 v0, v2, v18
	v_fma_f32 v1, v3, v18, -v1
	s_waitcnt vmcnt(7)
	v_mul_f32_e32 v2, v33, v21
	v_mul_f32_e32 v3, v32, v21
	v_fmac_f32_e32 v2, v32, v20
	v_fma_f32 v3, v33, v20, -v3
	ds_write2_b64 v10, v[0:1], v[2:3] offset0:63 offset1:84
	s_waitcnt vmcnt(6)
	v_mul_f32_e32 v0, v35, v23
	v_mul_f32_e32 v1, v34, v23
	s_waitcnt vmcnt(5)
	v_mul_f32_e32 v2, v5, v25
	v_mul_f32_e32 v3, v4, v25
	v_fmac_f32_e32 v0, v34, v22
	v_fma_f32 v1, v35, v22, -v1
	v_fmac_f32_e32 v2, v4, v24
	v_fma_f32 v3, v5, v24, -v3
	ds_write2_b64 v10, v[0:1], v[2:3] offset0:105 offset1:126
	s_waitcnt vmcnt(4)
	v_mul_f32_e32 v0, v37, v27
	v_mul_f32_e32 v1, v36, v27
	v_fmac_f32_e32 v0, v36, v26
	v_fma_f32 v1, v37, v26, -v1
	s_waitcnt vmcnt(3)
	v_mul_f32_e32 v2, v39, v29
	v_mul_f32_e32 v3, v38, v29
	v_fmac_f32_e32 v2, v38, v28
	v_fma_f32 v3, v39, v28, -v3
	ds_write2_b64 v10, v[0:1], v[2:3] offset0:147 offset1:168
	s_waitcnt vmcnt(2)
	v_mul_f32_e32 v0, v41, v31
	v_mul_f32_e32 v1, v40, v31
	v_fmac_f32_e32 v0, v40, v30
	v_fma_f32 v1, v41, v30, -v1
	s_waitcnt vmcnt(0)
	v_mul_f32_e32 v2, v46, v43
	v_mul_f32_e32 v3, v45, v43
	v_fmac_f32_e32 v2, v45, v42
	v_fma_f32 v3, v46, v42, -v3
	ds_write2_b64 v10, v[0:1], v[2:3] offset0:189 offset1:210
.LBB0_3:
	s_or_b64 exec, exec, s[14:15]
	s_load_dwordx2 s[2:3], s[4:5], 0x20
	s_load_dwordx2 s[14:15], s[4:5], 0x8
	v_mov_b32_e32 v4, 0
	v_mov_b32_e32 v5, 0
	s_waitcnt lgkmcnt(0)
	s_barrier
	s_waitcnt lgkmcnt(0)
                                        ; implicit-def: $vgpr8
                                        ; implicit-def: $vgpr20
                                        ; implicit-def: $vgpr0
                                        ; implicit-def: $vgpr18
                                        ; implicit-def: $vgpr14
	s_and_saveexec_b64 s[4:5], s[0:1]
	s_cbranch_execz .LBB0_5
; %bb.4:
	v_lshl_add_u32 v0, v53, 3, v51
	ds_read2_b64 v[4:7], v0 offset1:21
	ds_read2_b64 v[12:15], v0 offset0:42 offset1:63
	ds_read2_b64 v[16:19], v0 offset0:84 offset1:105
	;; [unrolled: 1-line block ×4, first 2 shown]
	ds_read_b64 v[0:1], v0 offset:1680
.LBB0_5:
	s_or_b64 exec, exec, s[4:5]
	s_waitcnt lgkmcnt(0)
	v_sub_f32_e32 v42, v7, v1
	v_mul_f32_e32 v27, 0xbf0a6770, v42
	v_sub_f32_e32 v57, v13, v23
	v_add_f32_e32 v24, v0, v6
	v_sub_f32_e32 v50, v6, v0
	v_mov_b32_e32 v2, v27
	v_mul_f32_e32 v32, 0xbf68dda4, v57
	v_add_f32_e32 v25, v1, v7
	s_mov_b32 s8, 0x3f575c64
	v_mul_f32_e32 v29, 0xbf0a6770, v50
	v_fmac_f32_e32 v2, 0x3f575c64, v24
	v_add_f32_e32 v26, v22, v12
	v_sub_f32_e32 v59, v12, v22
	v_mov_b32_e32 v30, v32
	v_add_f32_e32 v2, v2, v4
	v_fma_f32 v3, v25, s8, -v29
	s_mov_b32 s9, 0x3ed4b147
	v_add_f32_e32 v28, v23, v13
	v_mul_f32_e32 v33, 0xbf68dda4, v59
	v_fmac_f32_e32 v30, 0x3ed4b147, v26
	v_sub_f32_e32 v60, v15, v21
	v_add_f32_e32 v3, v3, v5
	v_add_f32_e32 v2, v30, v2
	v_fma_f32 v30, v28, s9, -v33
	v_mul_f32_e32 v35, 0xbf7d64f0, v60
	v_add_f32_e32 v3, v30, v3
	v_add_f32_e32 v30, v20, v14
	v_sub_f32_e32 v64, v14, v20
	v_mov_b32_e32 v34, v35
	s_mov_b32 s10, 0xbe11bafb
	v_add_f32_e32 v31, v21, v15
	v_mul_f32_e32 v37, 0xbf7d64f0, v64
	v_fmac_f32_e32 v34, 0xbe11bafb, v30
	v_sub_f32_e32 v70, v17, v11
	v_add_f32_e32 v2, v34, v2
	v_fma_f32 v34, v31, s10, -v37
	v_mul_f32_e32 v39, 0xbf4178ce, v70
	v_add_f32_e32 v3, v34, v3
	v_add_f32_e32 v34, v10, v16
	v_mov_b32_e32 v36, v39
	v_fmac_f32_e32 v36, 0xbf27a4f4, v34
	v_sub_f32_e32 v73, v16, v10
	v_add_f32_e32 v2, v36, v2
	s_mov_b32 s11, 0xbf27a4f4
	v_add_f32_e32 v36, v11, v17
	v_mul_f32_e32 v49, 0xbf4178ce, v73
	v_sub_f32_e32 v76, v19, v9
	v_fma_f32 v38, v36, s11, -v49
	v_mul_f32_e32 v56, 0xbe903f40, v76
	v_add_f32_e32 v3, v38, v3
	v_add_f32_e32 v38, v8, v18
	v_mov_b32_e32 v40, v56
	v_sub_f32_e32 v83, v18, v8
	s_mov_b32 s16, 0xbf75a155
	v_fmac_f32_e32 v40, 0xbf75a155, v38
	v_add_f32_e32 v43, v9, v19
	v_mul_f32_e32 v58, 0xbe903f40, v83
	v_add_f32_e32 v45, v40, v2
	v_fma_f32 v2, v43, s16, -v58
	v_mul_f32_e32 v61, 0xbf68dda4, v42
	v_add_f32_e32 v46, v2, v3
	v_mov_b32_e32 v2, v61
	v_mul_f32_e32 v62, 0xbf4178ce, v57
	v_fmac_f32_e32 v2, 0x3ed4b147, v24
	v_mov_b32_e32 v3, v62
	v_add_f32_e32 v2, v2, v4
	v_fmac_f32_e32 v3, 0xbf27a4f4, v26
	v_mul_f32_e32 v66, 0xbf68dda4, v50
	v_add_f32_e32 v2, v3, v2
	v_fma_f32 v3, v25, s9, -v66
	v_mul_f32_e32 v67, 0xbf4178ce, v59
	v_add_f32_e32 v3, v3, v5
	v_fma_f32 v40, v28, s11, -v67
	v_mul_f32_e32 v63, 0x3e903f40, v60
	v_add_f32_e32 v3, v40, v3
	v_mov_b32_e32 v40, v63
	v_fmac_f32_e32 v40, 0xbf75a155, v30
	v_mul_f32_e32 v69, 0x3e903f40, v64
	v_add_f32_e32 v2, v40, v2
	v_fma_f32 v40, v31, s16, -v69
	v_mul_f32_e32 v65, 0x3f7d64f0, v70
	v_add_f32_e32 v3, v40, v3
	v_mov_b32_e32 v40, v65
	v_fmac_f32_e32 v40, 0xbe11bafb, v34
	;; [unrolled: 7-line block ×3, first 2 shown]
	v_mul_f32_e32 v72, 0x3f0a6770, v83
	v_add_f32_e32 v47, v40, v2
	v_fma_f32 v2, v43, s8, -v72
	v_mul_f32_e32 v74, 0xbf7d64f0, v42
	v_add_f32_e32 v48, v2, v3
	v_mov_b32_e32 v2, v74
	v_mul_f32_e32 v75, 0x3e903f40, v57
	v_fmac_f32_e32 v2, 0xbe11bafb, v24
	v_mov_b32_e32 v3, v75
	v_add_f32_e32 v2, v2, v4
	v_fmac_f32_e32 v3, 0xbf75a155, v26
	v_mul_f32_e32 v79, 0xbf7d64f0, v50
	v_add_f32_e32 v2, v3, v2
	v_fma_f32 v3, v25, s10, -v79
	v_mul_f32_e32 v80, 0x3e903f40, v59
	v_add_f32_e32 v3, v3, v5
	v_fma_f32 v40, v28, s16, -v80
	v_mul_f32_e32 v77, 0x3f68dda4, v60
	v_add_f32_e32 v3, v40, v3
	v_mov_b32_e32 v40, v77
	v_fmac_f32_e32 v40, 0x3ed4b147, v30
	v_mul_f32_e32 v82, 0x3f68dda4, v64
	v_add_f32_e32 v2, v40, v2
	v_fma_f32 v40, v31, s9, -v82
	v_mul_f32_e32 v78, 0xbf0a6770, v70
	v_add_f32_e32 v3, v40, v3
	v_mov_b32_e32 v40, v78
	v_fmac_f32_e32 v40, 0x3f575c64, v34
	;; [unrolled: 7-line block ×3, first 2 shown]
	v_mul_f32_e32 v85, 0xbf4178ce, v83
	v_add_f32_e32 v40, v40, v2
	v_fma_f32 v2, v43, s11, -v85
	v_mul_f32_e32 v86, 0xbf4178ce, v42
	v_add_f32_e32 v41, v2, v3
	v_mov_b32_e32 v2, v86
	v_mul_f32_e32 v87, 0x3f7d64f0, v57
	v_fmac_f32_e32 v2, 0xbf27a4f4, v24
	v_mov_b32_e32 v3, v87
	v_add_f32_e32 v2, v2, v4
	v_fmac_f32_e32 v3, 0xbe11bafb, v26
	v_mul_f32_e32 v91, 0xbf4178ce, v50
	v_add_f32_e32 v2, v3, v2
	v_fma_f32 v3, v25, s11, -v91
	v_mul_f32_e32 v92, 0x3f7d64f0, v59
	v_add_f32_e32 v3, v3, v5
	v_fma_f32 v55, v28, s10, -v92
	v_mul_f32_e32 v88, 0xbf0a6770, v60
	v_add_f32_e32 v3, v55, v3
	v_mov_b32_e32 v55, v88
	v_fmac_f32_e32 v55, 0x3f575c64, v30
	v_mul_f32_e32 v93, 0xbf0a6770, v64
	v_add_f32_e32 v2, v55, v2
	v_fma_f32 v55, v31, s8, -v93
	v_mul_f32_e32 v89, 0xbe903f40, v70
	v_add_f32_e32 v3, v55, v3
	v_mov_b32_e32 v55, v89
	v_fmac_f32_e32 v55, 0xbf75a155, v34
	v_mul_f32_e32 v94, 0xbe903f40, v73
	v_add_f32_e32 v2, v55, v2
	v_fma_f32 v55, v36, s16, -v94
	v_mul_f32_e32 v90, 0x3f68dda4, v76
	v_add_f32_e32 v3, v55, v3
	v_mov_b32_e32 v55, v90
	v_mul_f32_e32 v95, 0x3f68dda4, v83
	v_fmac_f32_e32 v55, 0x3ed4b147, v38
	v_fma_f32 v96, v43, s9, -v95
	v_add_f32_e32 v2, v55, v2
	v_add_f32_e32 v3, v96, v3
	v_mul_lo_u16_e32 v55, 11, v52
	s_barrier
	s_and_saveexec_b64 s[4:5], s[0:1]
	s_cbranch_execz .LBB0_7
; %bb.6:
	v_mul_f32_e32 v50, 0xbe903f40, v50
	v_mov_b32_e32 v96, v50
	v_mul_f32_e32 v124, 0x3f0a6770, v59
	v_fmac_f32_e32 v96, 0xbf75a155, v25
	v_mov_b32_e32 v59, v124
	v_mul_f32_e32 v125, 0xbf4178ce, v64
	v_add_f32_e32 v96, v96, v5
	v_fmac_f32_e32 v59, 0x3f575c64, v28
	v_mov_b32_e32 v64, v125
	v_add_f32_e32 v59, v59, v96
	v_fmac_f32_e32 v64, 0xbf27a4f4, v31
	v_mul_f32_e32 v73, 0x3f68dda4, v73
	v_add_f32_e32 v59, v64, v59
	v_mov_b32_e32 v64, v73
	v_fmac_f32_e32 v64, 0x3ed4b147, v36
	v_mul_f32_e32 v83, 0xbf7d64f0, v83
	v_add_f32_e32 v59, v64, v59
	v_mov_b32_e32 v64, v83
	v_fmac_f32_e32 v64, 0xbe11bafb, v43
	v_mul_f32_e32 v42, 0xbe903f40, v42
	v_add_f32_e32 v97, v64, v59
	v_fma_f32 v59, v24, s16, -v42
	v_mul_f32_e32 v57, 0x3f0a6770, v57
	v_add_f32_e32 v6, v6, v4
	v_add_f32_e32 v59, v59, v4
	v_fma_f32 v64, v26, s8, -v57
	v_mul_f32_e32 v126, 0xbf4178ce, v60
	v_add_f32_e32 v6, v12, v6
	;; [unrolled: 4-line block ×4, first 2 shown]
	v_mul_f32_e32 v99, 0x3f575c64, v25
	v_mul_f32_e32 v105, 0xbf27a4f4, v25
	v_add_f32_e32 v59, v60, v59
	v_fma_f32 v60, v38, s10, -v127
	v_add_f32_e32 v6, v18, v6
	v_mul_f32_e32 v107, 0x3ed4b147, v28
	v_mul_f32_e32 v113, 0xbe11bafb, v28
	v_add_f32_e32 v96, v60, v59
	v_add_f32_e32 v59, v91, v105
	;; [unrolled: 1-line block ×5, first 2 shown]
	v_mul_f32_e32 v115, 0xbe11bafb, v31
	v_mul_f32_e32 v121, 0x3f575c64, v31
	v_add_f32_e32 v60, v92, v113
	v_add_f32_e32 v59, v59, v5
	;; [unrolled: 1-line block ×6, first 2 shown]
	v_mul_f32_e32 v123, 0xbf27a4f4, v36
	v_add_f32_e32 v59, v60, v59
	v_add_f32_e32 v60, v93, v121
	v_mul_f32_e32 v93, 0xbf75a155, v36
	v_add_f32_e32 v29, v33, v29
	v_add_f32_e32 v33, v37, v115
	;; [unrolled: 1-line block ×4, first 2 shown]
	v_mul_f32_e32 v98, 0x3f575c64, v24
	v_mul_f32_e32 v101, 0x3ed4b147, v25
	;; [unrolled: 1-line block ×3, first 2 shown]
	v_add_f32_e32 v59, v60, v59
	v_add_f32_e32 v60, v94, v93
	v_mul_f32_e32 v93, 0xbf75a155, v43
	v_add_f32_e32 v29, v33, v29
	v_add_f32_e32 v33, v49, v123
	;; [unrolled: 1-line block ×4, first 2 shown]
	v_mul_f32_e32 v100, 0x3ed4b147, v24
	v_mul_f32_e32 v102, 0xbe11bafb, v24
	;; [unrolled: 1-line block ×4, first 2 shown]
	v_add_f32_e32 v79, v79, v103
	v_add_f32_e32 v66, v66, v101
	;; [unrolled: 1-line block ×4, first 2 shown]
	v_sub_f32_e32 v27, v98, v27
	v_add_f32_e32 v7, v19, v7
	v_add_f32_e32 v0, v0, v6
	v_fma_f32 v6, v25, s16, -v50
	v_mul_f32_e32 v108, 0xbf27a4f4, v26
	v_mul_f32_e32 v109, 0xbf27a4f4, v28
	;; [unrolled: 1-line block ×6, first 2 shown]
	v_sub_f32_e32 v86, v104, v86
	v_add_f32_e32 v79, v79, v5
	v_sub_f32_e32 v74, v102, v74
	v_add_f32_e32 v66, v66, v5
	;; [unrolled: 2-line block ×3, first 2 shown]
	v_add_f32_e32 v27, v27, v4
	v_sub_f32_e32 v29, v106, v32
	v_add_f32_e32 v7, v9, v7
	v_add_f32_e32 v5, v6, v5
	v_fma_f32 v6, v28, s8, -v124
	v_fmac_f32_e32 v42, 0xbf75a155, v24
	v_mul_f32_e32 v116, 0xbf75a155, v30
	v_mul_f32_e32 v117, 0xbf75a155, v31
	;; [unrolled: 1-line block ×6, first 2 shown]
	v_add_f32_e32 v59, v60, v59
	v_mul_f32_e32 v60, 0x3ed4b147, v43
	v_sub_f32_e32 v87, v112, v87
	v_add_f32_e32 v86, v86, v4
	v_add_f32_e32 v80, v80, v111
	v_add_f32_e32 v74, v74, v4
	v_sub_f32_e32 v75, v110, v75
	v_add_f32_e32 v67, v67, v109
	v_add_f32_e32 v61, v61, v4
	v_sub_f32_e32 v62, v108, v62
	v_add_f32_e32 v27, v29, v27
	v_sub_f32_e32 v29, v114, v35
	v_add_f32_e32 v7, v11, v7
	v_add_f32_e32 v5, v6, v5
	v_fma_f32 v6, v31, s11, -v125
	v_add_f32_e32 v4, v42, v4
	v_fmac_f32_e32 v57, 0x3f575c64, v26
	v_mul_f32_e32 v128, 0xbe11bafb, v34
	v_mul_f32_e32 v64, 0xbe11bafb, v36
	;; [unrolled: 1-line block ×6, first 2 shown]
	v_add_f32_e32 v60, v95, v60
	v_add_f32_e32 v86, v87, v86
	v_sub_f32_e32 v88, v120, v88
	v_add_f32_e32 v79, v80, v79
	v_add_f32_e32 v80, v82, v119
	v_add_f32_e32 v74, v75, v74
	v_sub_f32_e32 v75, v118, v77
	v_add_f32_e32 v66, v67, v66
	v_add_f32_e32 v67, v69, v117
	v_add_f32_e32 v61, v62, v61
	v_sub_f32_e32 v62, v116, v63
	v_add_f32_e32 v27, v29, v27
	v_sub_f32_e32 v29, v122, v39
	v_add_f32_e32 v7, v21, v7
	v_add_f32_e32 v5, v6, v5
	v_fma_f32 v6, v36, s9, -v73
	v_add_f32_e32 v4, v57, v4
	v_fmac_f32_e32 v126, 0xbf27a4f4, v30
	v_mul_f32_e32 v94, 0x3f575c64, v38
	v_mul_f32_e32 v95, 0x3f575c64, v43
	;; [unrolled: 1-line block ×5, first 2 shown]
	v_add_f32_e32 v60, v60, v59
	v_add_f32_e32 v59, v88, v86
	v_sub_f32_e32 v86, v92, v89
	v_add_f32_e32 v79, v80, v79
	v_add_f32_e32 v76, v84, v76
	v_add_f32_e32 v74, v75, v74
	v_sub_f32_e32 v75, v91, v78
	v_add_f32_e32 v66, v67, v66
	;; [unrolled: 4-line block ×3, first 2 shown]
	v_sub_f32_e32 v29, v105, v56
	v_add_f32_e32 v7, v23, v7
	v_add_f32_e32 v5, v6, v5
	v_fma_f32 v6, v43, s10, -v83
	v_add_f32_e32 v4, v126, v4
	v_fmac_f32_e32 v70, 0x3ed4b147, v34
	v_add_f32_e32 v59, v86, v59
	v_sub_f32_e32 v86, v112, v90
	v_add_f32_e32 v76, v76, v79
	v_add_f32_e32 v79, v85, v87
	v_add_f32_e32 v74, v75, v74
	v_sub_f32_e32 v75, v104, v81
	v_add_f32_e32 v64, v64, v66
	v_add_f32_e32 v66, v72, v95
	;; [unrolled: 4-line block ×3, first 2 shown]
	v_add_f32_e32 v5, v6, v5
	v_add_f32_e32 v4, v70, v4
	v_fmac_f32_e32 v127, 0xbe11bafb, v38
	v_add_lshl_u32 v6, v53, v55, 3
	v_add_f32_e32 v59, v86, v59
	v_add_f32_e32 v76, v79, v76
	;; [unrolled: 1-line block ×6, first 2 shown]
	ds_write2_b64 v6, v[0:1], v[32:33] offset1:1
	ds_write2_b64 v6, v[63:64], v[75:76] offset0:2 offset1:3
	ds_write2_b64 v6, v[59:60], v[96:97] offset0:4 offset1:5
	;; [unrolled: 1-line block ×4, first 2 shown]
	ds_write_b64 v6, v[45:46] offset:80
.LBB0_7:
	s_or_b64 exec, exec, s[4:5]
	s_load_dwordx4 s[8:11], s[2:3], 0x0
	s_movk_i32 s2, 0x75
	v_mul_lo_u16_sdwa v0, v52, s2 dst_sel:DWORD dst_unused:UNUSED_PAD src0_sel:BYTE_0 src1_sel:DWORD
	v_sub_u16_sdwa v1, v52, v0 dst_sel:DWORD dst_unused:UNUSED_PAD src0_sel:DWORD src1_sel:BYTE_1
	v_lshrrev_b16_e32 v1, 1, v1
	v_and_b32_e32 v1, 0x7f, v1
	v_add_u16_sdwa v0, v1, v0 dst_sel:DWORD dst_unused:UNUSED_PAD src0_sel:DWORD src1_sel:BYTE_1
	v_lshrrev_b16_e32 v28, 3, v0
	v_mul_lo_u16_e32 v0, 11, v28
	v_sub_u16_e32 v29, v52, v0
	v_mov_b32_e32 v0, 6
	v_mul_u32_u24_sdwa v0, v29, v0 dst_sel:DWORD dst_unused:UNUSED_PAD src0_sel:BYTE_0 src1_sel:DWORD
	v_lshlrev_b32_e32 v0, 3, v0
	s_waitcnt lgkmcnt(0)
	s_barrier
	global_load_dwordx4 v[12:15], v0, s[14:15]
	global_load_dwordx4 v[8:11], v0, s[14:15] offset:16
	global_load_dwordx4 v[4:7], v0, s[14:15] offset:32
	v_add_lshl_u32 v56, v53, v52, 3
	ds_read2_b64 v[16:19], v56 offset1:33
	ds_read2_b64 v[20:23], v56 offset0:66 offset1:99
	ds_read2_b64 v[24:27], v56 offset0:132 offset1:165
	ds_read_b64 v[0:1], v56 offset:1584
	s_mov_b32 s2, 0x3f5ff5aa
	s_mov_b32 s4, 0xbf3bfb3b
	;; [unrolled: 1-line block ×3, first 2 shown]
	v_mul_u32_u24_e32 v28, 0x4d, v28
	v_add_u32_sdwa v28, v28, v29 dst_sel:DWORD dst_unused:UNUSED_PAD src0_sel:DWORD src1_sel:BYTE_0
	v_add_lshl_u32 v58, v53, v28, 3
	s_waitcnt vmcnt(0) lgkmcnt(0)
	s_barrier
	v_mul_f32_e32 v30, v19, v13
	v_mul_f32_e32 v31, v18, v13
	;; [unrolled: 1-line block ×12, first 2 shown]
	v_fma_f32 v18, v18, v12, -v30
	v_fmac_f32_e32 v31, v19, v12
	v_fma_f32 v19, v20, v14, -v32
	v_fmac_f32_e32 v33, v21, v14
	v_fma_f32 v20, v22, v8, -v34
	v_fma_f32 v22, v26, v4, -v38
	v_fmac_f32_e32 v39, v27, v4
	v_fma_f32 v0, v0, v6, -v42
	v_fmac_f32_e32 v43, v1, v6
	v_fmac_f32_e32 v35, v23, v8
	v_fma_f32 v21, v24, v10, -v36
	v_fmac_f32_e32 v37, v25, v10
	v_add_f32_e32 v1, v18, v0
	v_add_f32_e32 v23, v31, v43
	;; [unrolled: 1-line block ×4, first 2 shown]
	v_sub_f32_e32 v0, v18, v0
	v_sub_f32_e32 v18, v31, v43
	v_add_f32_e32 v26, v20, v21
	v_add_f32_e32 v27, v35, v37
	v_add_f32_e32 v30, v24, v1
	v_add_f32_e32 v31, v25, v23
	v_sub_f32_e32 v19, v19, v22
	v_sub_f32_e32 v22, v33, v39
	;; [unrolled: 1-line block ×10, first 2 shown]
	v_add_f32_e32 v26, v26, v30
	v_add_f32_e32 v27, v27, v31
	v_add_f32_e32 v34, v20, v19
	v_add_f32_e32 v35, v21, v22
	v_sub_f32_e32 v36, v20, v19
	v_sub_f32_e32 v37, v21, v22
	v_add_f32_e32 v16, v16, v26
	v_add_f32_e32 v17, v17, v27
	v_sub_f32_e32 v20, v0, v20
	v_sub_f32_e32 v21, v18, v21
	;; [unrolled: 1-line block ×4, first 2 shown]
	v_add_f32_e32 v0, v34, v0
	v_add_f32_e32 v18, v35, v18
	v_mul_f32_e32 v1, 0x3f4a47b2, v1
	v_mul_f32_e32 v23, 0x3f4a47b2, v23
	;; [unrolled: 1-line block ×4, first 2 shown]
	v_mov_b32_e32 v38, v16
	v_mov_b32_e32 v39, v17
	v_mul_f32_e32 v30, 0x3d64c772, v24
	v_mul_f32_e32 v31, 0x3d64c772, v25
	;; [unrolled: 1-line block ×4, first 2 shown]
	v_fmac_f32_e32 v38, 0xbf955555, v26
	v_fmac_f32_e32 v39, 0xbf955555, v27
	v_fma_f32 v26, v32, s4, -v1
	v_fmac_f32_e32 v1, 0x3d64c772, v24
	v_fma_f32 v24, v33, s4, -v23
	;; [unrolled: 2-line block ×4, first 2 shown]
	v_fmac_f32_e32 v35, 0x3eae86e6, v21
	s_mov_b32 s2, 0xbeae86e6
	v_fma_f32 v30, v32, s3, -v30
	v_fma_f32 v31, v33, s3, -v31
	;; [unrolled: 1-line block ×4, first 2 shown]
	v_add_f32_e32 v1, v1, v38
	v_add_f32_e32 v36, v23, v39
	v_fmac_f32_e32 v34, 0x3ee1c552, v0
	v_fmac_f32_e32 v35, 0x3ee1c552, v18
	v_add_f32_e32 v30, v30, v38
	v_add_f32_e32 v31, v31, v39
	;; [unrolled: 1-line block ×4, first 2 shown]
	v_fmac_f32_e32 v25, 0x3ee1c552, v0
	v_fmac_f32_e32 v27, 0x3ee1c552, v18
	;; [unrolled: 1-line block ×4, first 2 shown]
	v_add_f32_e32 v18, v35, v1
	v_sub_f32_e32 v19, v36, v34
	v_add_f32_e32 v20, v33, v26
	v_sub_f32_e32 v21, v37, v32
	v_sub_f32_e32 v22, v30, v27
	v_add_f32_e32 v23, v25, v31
	v_add_f32_e32 v24, v27, v30
	v_sub_f32_e32 v25, v31, v25
	v_sub_f32_e32 v26, v26, v33
	v_add_f32_e32 v27, v32, v37
	v_sub_f32_e32 v0, v1, v35
	v_add_f32_e32 v1, v34, v36
	ds_write2_b64 v58, v[16:17], v[18:19] offset1:11
	ds_write2_b64 v58, v[20:21], v[22:23] offset0:22 offset1:33
	ds_write2_b64 v58, v[24:25], v[26:27] offset0:44 offset1:55
	ds_write_b64 v58, v[0:1] offset:528
	s_waitcnt lgkmcnt(0)
	s_barrier
	ds_read2_b64 v[28:31], v56 offset1:33
	ds_read2_b64 v[32:35], v56 offset0:77 offset1:110
	ds_read2_b64 v[36:39], v56 offset0:154 offset1:187
	v_cmp_gt_u16_e64 s[2:3], 11, v52
	s_and_saveexec_b64 s[4:5], s[2:3]
	s_cbranch_execz .LBB0_9
; %bb.8:
	ds_read2_b64 v[0:3], v56 offset0:66 offset1:143
	ds_read_b64 v[40:41], v56 offset:1760
.LBB0_9:
	s_or_b64 exec, exec, s[4:5]
	v_lshlrev_b32_e32 v16, 4, v52
	global_load_dwordx4 v[20:23], v16, s[14:15] offset:528
	v_add_u32_e32 v16, 0x210, v16
	global_load_dwordx4 v[24:27], v16, s[14:15] offset:528
	v_add_co_u32_e32 v16, vcc, 0x42, v52
	v_add_co_u32_e64 v17, s[4:5], -11, v52
	v_addc_co_u32_e64 v18, s[4:5], 0, -1, s[4:5]
	v_addc_co_u32_e64 v42, s[4:5], 0, 0, vcc
	v_cndmask_b32_e64 v16, v17, v16, s[2:3]
	v_cndmask_b32_e64 v17, v18, v42, s[2:3]
	v_lshlrev_b64 v[16:17], 4, v[16:17]
	v_mov_b32_e32 v19, s15
	v_add_co_u32_e32 v16, vcc, s14, v16
	v_addc_co_u32_e32 v17, vcc, v19, v17, vcc
	global_load_dwordx4 v[16:19], v[16:17], off offset:528
	s_waitcnt vmcnt(2) lgkmcnt(1)
	v_mul_f32_e32 v42, v33, v21
	v_mul_f32_e32 v43, v32, v21
	s_waitcnt lgkmcnt(0)
	v_mul_f32_e32 v49, v37, v23
	v_mul_f32_e32 v50, v36, v23
	v_fma_f32 v32, v32, v20, -v42
	v_fmac_f32_e32 v43, v33, v20
	v_fma_f32 v33, v36, v22, -v49
	v_fmac_f32_e32 v50, v37, v22
	s_waitcnt vmcnt(1)
	v_mul_f32_e32 v42, v34, v25
	v_mul_f32_e32 v37, v39, v27
	;; [unrolled: 1-line block ×4, first 2 shown]
	v_fmac_f32_e32 v42, v35, v24
	v_fma_f32 v38, v38, v26, -v37
	v_fmac_f32_e32 v49, v39, v26
	v_add_f32_e32 v35, v28, v32
	v_add_f32_e32 v37, v29, v43
	;; [unrolled: 1-line block ×3, first 2 shown]
	v_fma_f32 v34, v34, v24, -v36
	v_add_f32_e32 v36, v32, v33
	v_sub_f32_e32 v57, v43, v50
	v_sub_f32_e32 v43, v32, v33
	v_add_f32_e32 v32, v35, v33
	v_add_f32_e32 v33, v37, v50
	v_fma_f32 v37, -0.5, v39, v29
	v_sub_f32_e32 v50, v42, v49
	v_add_f32_e32 v39, v31, v42
	v_add_f32_e32 v42, v42, v49
	;; [unrolled: 1-line block ×3, first 2 shown]
	v_fmac_f32_e32 v31, -0.5, v42
	s_waitcnt vmcnt(0)
	v_mul_f32_e32 v42, v3, v17
	v_mul_f32_e32 v49, v2, v17
	v_mul_f32_e32 v60, v41, v19
	v_mul_f32_e32 v61, v40, v19
	v_add_f32_e32 v29, v34, v38
	v_mov_b32_e32 v35, v37
	v_fma_f32 v2, v2, v16, -v42
	v_fmac_f32_e32 v49, v3, v16
	v_fma_f32 v3, v40, v18, -v60
	v_fmac_f32_e32 v61, v41, v18
	v_fma_f32 v36, -0.5, v36, v28
	v_add_f32_e32 v28, v30, v34
	v_fmac_f32_e32 v37, 0x3f5db3d7, v43
	v_fma_f32 v30, -0.5, v29, v30
	v_fmac_f32_e32 v35, 0xbf5db3d7, v43
	v_add_f32_e32 v41, v2, v3
	v_add_f32_e32 v43, v49, v61
	v_sub_f32_e32 v59, v34, v38
	v_add_f32_e32 v38, v28, v38
	v_mov_b32_e32 v28, v30
	v_add_f32_e32 v40, v0, v2
	v_add_f32_e32 v42, v1, v49
	v_fmac_f32_e32 v0, -0.5, v41
	v_fmac_f32_e32 v1, -0.5, v43
	v_mov_b32_e32 v34, v36
	v_fmac_f32_e32 v30, 0xbf5db3d7, v50
	v_mov_b32_e32 v29, v31
	v_fmac_f32_e32 v28, 0x3f5db3d7, v50
	v_sub_f32_e32 v50, v49, v61
	v_sub_f32_e32 v2, v2, v3
	v_add_f32_e32 v41, v42, v61
	v_mov_b32_e32 v42, v0
	v_mov_b32_e32 v43, v1
	v_fmac_f32_e32 v36, 0xbf5db3d7, v57
	v_fmac_f32_e32 v34, 0x3f5db3d7, v57
	;; [unrolled: 1-line block ×4, first 2 shown]
	v_add_f32_e32 v40, v40, v3
	v_fmac_f32_e32 v0, 0xbf5db3d7, v50
	v_fmac_f32_e32 v42, 0x3f5db3d7, v50
	;; [unrolled: 1-line block ×4, first 2 shown]
	v_lshl_add_u32 v57, v52, 3, v54
	v_add_u32_e32 v59, v51, v54
	ds_write2_b64 v57, v[34:35], v[36:37] offset0:77 offset1:154
	ds_write2_b64 v57, v[32:33], v[38:39] offset1:33
	ds_write2_b64 v59, v[28:29], v[30:31] offset0:110 offset1:187
	s_and_saveexec_b64 s[4:5], s[2:3]
	s_cbranch_execz .LBB0_11
; %bb.10:
	ds_write2_b64 v57, v[40:41], v[42:43] offset0:66 offset1:143
	ds_write_b64 v57, v[0:1] offset:1760
.LBB0_11:
	s_or_b64 exec, exec, s[4:5]
	s_waitcnt lgkmcnt(0)
	s_barrier
	s_and_saveexec_b64 s[4:5], s[0:1]
	s_cbranch_execz .LBB0_13
; %bb.12:
	global_load_dwordx2 v[2:3], v51, s[6:7] offset:1848
	s_add_u32 s14, s6, 0x738
	s_addc_u32 s15, s7, 0
	global_load_dwordx2 v[49:50], v51, s[14:15] offset:168
	global_load_dwordx2 v[80:81], v51, s[14:15] offset:336
	;; [unrolled: 1-line block ×10, first 2 shown]
	ds_read2_b64 v[60:63], v57 offset1:21
	ds_read2_b64 v[64:67], v57 offset0:42 offset1:63
	ds_read2_b64 v[68:71], v57 offset0:84 offset1:105
	;; [unrolled: 1-line block ×4, first 2 shown]
	ds_read_b64 v[98:99], v57 offset:1680
	s_waitcnt vmcnt(7) lgkmcnt(4)
	v_mul_f32_e32 v102, v67, v83
	s_waitcnt vmcnt(6) lgkmcnt(3)
	v_mul_f32_e32 v103, v69, v85
	s_waitcnt vmcnt(5)
	v_mul_f32_e32 v104, v71, v87
	s_waitcnt vmcnt(4) lgkmcnt(2)
	v_mul_f32_e32 v105, v73, v89
	v_mul_f32_e32 v100, v61, v3
	;; [unrolled: 1-line block ×3, first 2 shown]
	v_fma_f32 v100, v60, v2, -v100
	v_fmac_f32_e32 v101, v61, v2
	v_mul_f32_e32 v2, v63, v50
	v_mul_f32_e32 v3, v62, v50
	;; [unrolled: 1-line block ×8, first 2 shown]
	s_waitcnt vmcnt(3)
	v_mul_f32_e32 v106, v75, v91
	v_mul_f32_e32 v87, v74, v91
	s_waitcnt vmcnt(2) lgkmcnt(1)
	v_mul_f32_e32 v107, v77, v93
	v_mul_f32_e32 v89, v76, v93
	s_waitcnt vmcnt(1)
	v_mul_f32_e32 v108, v79, v95
	v_mul_f32_e32 v91, v78, v95
	s_waitcnt vmcnt(0) lgkmcnt(0)
	v_mul_f32_e32 v95, v99, v97
	v_mul_f32_e32 v93, v98, v97
	v_fma_f32 v2, v62, v49, -v2
	v_fmac_f32_e32 v3, v63, v49
	v_fma_f32 v49, v64, v80, -v60
	v_fmac_f32_e32 v50, v65, v80
	;; [unrolled: 2-line block ×10, first 2 shown]
	ds_write2_b64 v57, v[100:101], v[2:3] offset1:21
	ds_write2_b64 v57, v[49:50], v[60:61] offset0:42 offset1:63
	ds_write2_b64 v57, v[80:81], v[82:83] offset0:84 offset1:105
	;; [unrolled: 1-line block ×4, first 2 shown]
	ds_write_b64 v57, v[92:93] offset:1680
.LBB0_13:
	s_or_b64 exec, exec, s[4:5]
	s_waitcnt lgkmcnt(0)
	s_barrier
	s_and_saveexec_b64 s[4:5], s[0:1]
	s_cbranch_execz .LBB0_15
; %bb.14:
	ds_read2_b64 v[32:35], v57 offset1:21
	ds_read2_b64 v[36:39], v57 offset0:42 offset1:63
	ds_read2_b64 v[28:31], v57 offset0:84 offset1:105
	;; [unrolled: 1-line block ×4, first 2 shown]
	ds_read_b64 v[45:46], v57 offset:1680
	s_waitcnt lgkmcnt(2)
	v_mov_b32_e32 v47, v2
	v_mov_b32_e32 v48, v3
.LBB0_15:
	s_or_b64 exec, exec, s[4:5]
	s_waitcnt lgkmcnt(0)
	v_sub_f32_e32 v70, v35, v46
	v_add_f32_e32 v60, v45, v34
	v_add_f32_e32 v72, v46, v35
	s_mov_b32 s14, 0xbe11bafb
	v_mul_f32_e32 v79, 0xbf7d64f0, v70
	v_sub_f32_e32 v71, v37, v48
	v_mul_f32_e32 v81, 0xbe11bafb, v72
	v_fma_f32 v2, v60, s14, -v79
	v_add_f32_e32 v62, v47, v36
	v_add_f32_e32 v74, v48, v37
	v_mul_f32_e32 v82, 0x3e903f40, v71
	v_sub_f32_e32 v61, v34, v45
	v_add_f32_e32 v2, v32, v2
	v_mov_b32_e32 v3, v81
	v_mul_f32_e32 v84, 0xbf75a155, v74
	v_fma_f32 v64, v62, s16, -v82
	v_fmac_f32_e32 v3, 0xbf7d64f0, v61
	s_mov_b32 s15, 0xbf27a4f4
	v_mul_f32_e32 v83, 0xbf4178ce, v70
	v_sub_f32_e32 v63, v36, v47
	v_add_f32_e32 v2, v64, v2
	v_mov_b32_e32 v64, v84
	v_add_f32_e32 v3, v33, v3
	v_mul_f32_e32 v86, 0xbf27a4f4, v72
	v_fma_f32 v49, v60, s15, -v83
	v_fmac_f32_e32 v64, 0x3e903f40, v63
	v_mul_f32_e32 v87, 0x3f7d64f0, v71
	v_add_f32_e32 v49, v32, v49
	v_mov_b32_e32 v50, v86
	v_add_f32_e32 v3, v64, v3
	v_mul_f32_e32 v90, 0xbe11bafb, v74
	v_fma_f32 v64, v62, s14, -v87
	v_fmac_f32_e32 v50, 0xbf4178ce, v61
	v_add_f32_e32 v49, v64, v49
	v_mov_b32_e32 v64, v90
	v_add_f32_e32 v50, v33, v50
	v_fmac_f32_e32 v64, 0x3f7d64f0, v63
	v_sub_f32_e32 v73, v39, v1
	v_add_f32_e32 v50, v64, v50
	v_add_f32_e32 v64, v0, v38
	;; [unrolled: 1-line block ×3, first 2 shown]
	s_mov_b32 s17, 0x3ed4b147
	v_mul_f32_e32 v85, 0x3f68dda4, v73
	v_mul_f32_e32 v88, 0x3ed4b147, v76
	v_fma_f32 v66, v64, s17, -v85
	v_sub_f32_e32 v65, v38, v0
	v_add_f32_e32 v2, v66, v2
	v_mov_b32_e32 v66, v88
	v_fmac_f32_e32 v66, 0x3f68dda4, v65
	s_mov_b32 s18, 0x3f575c64
	v_mul_f32_e32 v91, 0xbf0a6770, v73
	v_add_f32_e32 v3, v66, v3
	v_mul_f32_e32 v94, 0x3f575c64, v76
	v_fma_f32 v66, v64, s18, -v91
	v_add_f32_e32 v49, v66, v49
	v_mov_b32_e32 v66, v94
	v_fmac_f32_e32 v66, 0xbf0a6770, v65
	v_sub_f32_e32 v75, v29, v43
	v_add_f32_e32 v50, v66, v50
	v_add_f32_e32 v66, v42, v28
	;; [unrolled: 1-line block ×3, first 2 shown]
	v_mul_f32_e32 v89, 0xbf0a6770, v75
	v_mul_f32_e32 v92, 0x3f575c64, v78
	v_fma_f32 v68, v66, s18, -v89
	v_sub_f32_e32 v67, v28, v42
	v_add_f32_e32 v2, v68, v2
	v_mov_b32_e32 v68, v92
	v_fmac_f32_e32 v68, 0xbf0a6770, v67
	v_mul_f32_e32 v95, 0xbe903f40, v75
	v_add_f32_e32 v3, v68, v3
	v_mul_f32_e32 v97, 0xbf75a155, v78
	v_fma_f32 v68, v66, s16, -v95
	v_add_f32_e32 v100, v68, v49
	v_mov_b32_e32 v49, v97
	v_sub_f32_e32 v77, v31, v41
	v_fmac_f32_e32 v49, 0xbe903f40, v67
	v_add_f32_e32 v68, v40, v30
	v_add_f32_e32 v80, v41, v31
	v_mul_f32_e32 v93, 0xbf4178ce, v77
	v_add_f32_e32 v101, v49, v50
	v_mul_f32_e32 v96, 0xbf27a4f4, v80
	v_fma_f32 v49, v68, s15, -v93
	v_sub_f32_e32 v69, v30, v40
	v_add_f32_e32 v49, v49, v2
	v_mov_b32_e32 v2, v96
	v_fmac_f32_e32 v2, 0xbf4178ce, v69
	v_mul_f32_e32 v99, 0x3ed4b147, v80
	v_add_f32_e32 v50, v2, v3
	v_mul_f32_e32 v98, 0x3f68dda4, v77
	v_mov_b32_e32 v3, v99
	v_fma_f32 v2, v68, s17, -v98
	v_fmac_f32_e32 v3, 0x3f68dda4, v69
	v_add_f32_e32 v2, v2, v100
	v_add_f32_e32 v3, v3, v101
	s_barrier
	s_and_saveexec_b64 s[4:5], s[0:1]
	s_cbranch_execz .LBB0_17
; %bb.16:
	v_mul_f32_e32 v105, 0xbf4178ce, v61
	v_mul_f32_e32 v109, 0x3f7d64f0, v63
	v_sub_f32_e32 v86, v86, v105
	v_mul_f32_e32 v113, 0xbf0a6770, v65
	v_add_f32_e32 v86, v33, v86
	v_sub_f32_e32 v90, v90, v109
	v_mul_f32_e32 v117, 0xbe903f40, v67
	v_add_f32_e32 v86, v90, v86
	v_sub_f32_e32 v90, v94, v113
	v_mul_f32_e32 v104, 0xbf27a4f4, v60
	v_mul_f32_e32 v121, 0x3f68dda4, v69
	v_add_f32_e32 v86, v90, v86
	v_sub_f32_e32 v90, v97, v117
	v_mul_f32_e32 v108, 0xbe11bafb, v62
	v_add_f32_e32 v86, v90, v86
	v_sub_f32_e32 v90, v99, v121
	v_add_f32_e32 v83, v104, v83
	v_mul_f32_e32 v112, 0x3f575c64, v64
	v_add_f32_e32 v99, v90, v86
	v_add_f32_e32 v83, v32, v83
	;; [unrolled: 1-line block ×3, first 2 shown]
	v_mul_f32_e32 v116, 0xbf75a155, v66
	v_add_f32_e32 v83, v86, v83
	v_add_f32_e32 v86, v112, v91
	v_mul_f32_e32 v103, 0xbf7d64f0, v61
	v_mul_f32_e32 v120, 0x3ed4b147, v68
	v_add_f32_e32 v83, v86, v83
	v_add_f32_e32 v86, v116, v95
	v_mul_f32_e32 v107, 0x3e903f40, v63
	v_add_f32_e32 v83, v86, v83
	v_add_f32_e32 v86, v120, v98
	v_sub_f32_e32 v81, v81, v103
	v_mul_f32_e32 v111, 0x3f68dda4, v65
	v_add_f32_e32 v98, v86, v83
	v_add_f32_e32 v81, v33, v81
	v_sub_f32_e32 v83, v84, v107
	v_mul_f32_e32 v115, 0xbf0a6770, v67
	v_add_f32_e32 v81, v83, v81
	v_sub_f32_e32 v83, v88, v111
	v_mul_f32_e32 v102, 0xbe11bafb, v60
	v_mul_f32_e32 v119, 0xbf4178ce, v69
	v_add_f32_e32 v81, v83, v81
	v_sub_f32_e32 v83, v92, v115
	v_mul_f32_e32 v106, 0xbf75a155, v62
	v_add_f32_e32 v81, v83, v81
	v_sub_f32_e32 v83, v96, v119
	v_add_f32_e32 v79, v102, v79
	v_mul_f32_e32 v110, 0x3ed4b147, v64
	v_add_f32_e32 v83, v83, v81
	v_add_f32_e32 v79, v32, v79
	;; [unrolled: 1-line block ×3, first 2 shown]
	v_mul_f32_e32 v114, 0x3f575c64, v66
	v_add_f32_e32 v79, v81, v79
	v_add_f32_e32 v81, v110, v85
	v_mul_f32_e32 v118, 0xbf27a4f4, v68
	v_add_f32_e32 v79, v81, v79
	v_add_f32_e32 v81, v114, v89
	;; [unrolled: 1-line block ×5, first 2 shown]
	v_mul_f32_e32 v79, 0x3ed4b147, v72
	v_mov_b32_e32 v81, v79
	v_mul_f32_e32 v86, 0xbf27a4f4, v74
	v_fmac_f32_e32 v81, 0x3f68dda4, v61
	v_mov_b32_e32 v84, v86
	v_add_f32_e32 v81, v33, v81
	v_fmac_f32_e32 v84, 0x3f4178ce, v63
	v_mul_f32_e32 v87, 0xbf75a155, v76
	v_add_f32_e32 v81, v84, v81
	v_mov_b32_e32 v84, v87
	v_fmac_f32_e32 v84, 0xbe903f40, v65
	v_mul_f32_e32 v88, 0xbe11bafb, v78
	v_add_f32_e32 v35, v35, v33
	v_add_f32_e32 v81, v84, v81
	v_mov_b32_e32 v84, v88
	v_add_f32_e32 v35, v37, v35
	v_mul_f32_e32 v122, 0xbf75a155, v72
	v_fmac_f32_e32 v84, 0xbf7d64f0, v67
	v_mul_f32_e32 v89, 0x3f575c64, v80
	v_add_f32_e32 v35, v39, v35
	v_mov_b32_e32 v100, v122
	v_mul_f32_e32 v123, 0x3f575c64, v74
	v_add_f32_e32 v81, v84, v81
	v_mov_b32_e32 v84, v89
	v_add_f32_e32 v29, v29, v35
	v_fmac_f32_e32 v100, 0x3e903f40, v61
	v_mov_b32_e32 v101, v123
	v_fmac_f32_e32 v84, 0xbf0a6770, v69
	v_add_f32_e32 v29, v31, v29
	v_add_f32_e32 v100, v33, v100
	v_fmac_f32_e32 v101, 0xbf0a6770, v63
	v_mul_f32_e32 v124, 0xbf27a4f4, v76
	v_add_f32_e32 v85, v84, v81
	v_mul_f32_e32 v81, 0xbf68dda4, v70
	v_add_f32_e32 v29, v41, v29
	v_add_f32_e32 v100, v101, v100
	v_mov_b32_e32 v101, v124
	v_mov_b32_e32 v84, v81
	v_mul_f32_e32 v90, 0xbf4178ce, v71
	v_add_f32_e32 v29, v43, v29
	v_fmac_f32_e32 v101, 0x3f4178ce, v65
	v_mul_f32_e32 v125, 0x3ed4b147, v78
	v_fmac_f32_e32 v84, 0x3ed4b147, v60
	v_mov_b32_e32 v91, v90
	v_add_f32_e32 v1, v1, v29
	v_add_f32_e32 v29, v34, v32
	;; [unrolled: 1-line block ×3, first 2 shown]
	v_mov_b32_e32 v101, v125
	v_add_f32_e32 v84, v32, v84
	v_fmac_f32_e32 v91, 0xbf27a4f4, v62
	v_add_f32_e32 v29, v36, v29
	v_fmac_f32_e32 v101, 0xbf68dda4, v67
	v_mul_f32_e32 v126, 0xbe11bafb, v80
	v_add_f32_e32 v84, v91, v84
	v_mul_f32_e32 v91, 0x3e903f40, v73
	v_add_f32_e32 v29, v38, v29
	v_add_f32_e32 v100, v101, v100
	v_mov_b32_e32 v101, v126
	v_mov_b32_e32 v92, v91
	v_add_f32_e32 v28, v28, v29
	v_fmac_f32_e32 v101, 0x3f7d64f0, v69
	v_mul_f32_e32 v127, 0xbe903f40, v70
	v_fmac_f32_e32 v92, 0xbf75a155, v64
	v_add_f32_e32 v28, v30, v28
	v_add_f32_e32 v101, v101, v100
	v_mov_b32_e32 v100, v127
	v_mul_f32_e32 v128, 0x3f0a6770, v71
	v_add_f32_e32 v84, v92, v84
	v_mul_f32_e32 v92, 0x3f7d64f0, v75
	v_add_f32_e32 v28, v40, v28
	v_fmac_f32_e32 v100, 0xbf75a155, v60
	v_mov_b32_e32 v129, v128
	v_mov_b32_e32 v93, v92
	v_add_f32_e32 v28, v42, v28
	v_fmac_f32_e32 v122, 0xbe903f40, v61
	v_add_f32_e32 v100, v32, v100
	v_fmac_f32_e32 v129, 0x3f575c64, v62
	v_fmac_f32_e32 v93, 0xbe11bafb, v66
	v_add_f32_e32 v0, v0, v28
	v_add_f32_e32 v28, v33, v122
	v_fmac_f32_e32 v123, 0x3f0a6770, v63
	v_add_f32_e32 v100, v129, v100
	v_mul_f32_e32 v129, 0xbf4178ce, v73
	v_add_f32_e32 v84, v93, v84
	v_mul_f32_e32 v93, 0x3f0a6770, v77
	v_add_f32_e32 v28, v123, v28
	v_fmac_f32_e32 v124, 0xbf4178ce, v65
	v_mov_b32_e32 v130, v129
	v_mov_b32_e32 v94, v93
	v_add_f32_e32 v28, v124, v28
	v_fmac_f32_e32 v125, 0x3f68dda4, v67
	v_fmac_f32_e32 v130, 0xbf27a4f4, v64
	;; [unrolled: 1-line block ×3, first 2 shown]
	v_add_f32_e32 v28, v125, v28
	v_fmac_f32_e32 v126, 0xbf7d64f0, v69
	v_add_f32_e32 v100, v130, v100
	v_mul_f32_e32 v130, 0x3f68dda4, v75
	v_add_f32_e32 v84, v94, v84
	v_mul_f32_e32 v94, 0x3f575c64, v72
	v_add_f32_e32 v29, v126, v28
	v_fma_f32 v28, v60, s16, -v127
	v_mov_b32_e32 v131, v130
	v_mov_b32_e32 v72, v94
	v_mul_f32_e32 v74, 0x3ed4b147, v74
	v_add_f32_e32 v28, v32, v28
	v_fma_f32 v30, v62, s18, -v128
	v_fmac_f32_e32 v131, 0x3ed4b147, v66
	v_fmac_f32_e32 v72, 0x3f0a6770, v61
	v_mov_b32_e32 v95, v74
	v_add_f32_e32 v28, v30, v28
	v_fma_f32 v30, v64, s15, -v129
	v_add_f32_e32 v100, v131, v100
	v_mul_f32_e32 v131, 0xbf7d64f0, v77
	v_add_f32_e32 v72, v33, v72
	v_fmac_f32_e32 v95, 0x3f68dda4, v63
	v_mul_f32_e32 v76, 0xbe11bafb, v76
	v_add_f32_e32 v28, v30, v28
	v_fma_f32 v30, v66, s17, -v130
	v_add_f32_e32 v72, v95, v72
	v_mov_b32_e32 v95, v76
	v_add_f32_e32 v28, v30, v28
	v_fma_f32 v30, v68, s14, -v131
	v_fmac_f32_e32 v79, 0xbf68dda4, v61
	v_fmac_f32_e32 v95, 0x3f7d64f0, v65
	v_mul_f32_e32 v78, 0xbf27a4f4, v78
	v_add_f32_e32 v28, v30, v28
	v_add_f32_e32 v30, v33, v79
	v_fmac_f32_e32 v86, 0xbf4178ce, v63
	v_add_f32_e32 v72, v95, v72
	v_mov_b32_e32 v95, v78
	v_add_f32_e32 v30, v86, v30
	v_fmac_f32_e32 v87, 0x3e903f40, v65
	v_fmac_f32_e32 v95, 0x3f4178ce, v67
	v_mul_f32_e32 v80, 0xbf75a155, v80
	v_add_f32_e32 v30, v87, v30
	v_fmac_f32_e32 v88, 0x3f7d64f0, v67
	v_add_f32_e32 v72, v95, v72
	v_mov_b32_e32 v95, v80
	v_add_f32_e32 v30, v88, v30
	v_fmac_f32_e32 v89, 0x3f0a6770, v69
	v_fmac_f32_e32 v95, 0x3e903f40, v69
	v_mul_f32_e32 v70, 0xbf0a6770, v70
	v_add_f32_e32 v31, v89, v30
	v_fma_f32 v30, v60, s17, -v81
	v_add_f32_e32 v72, v95, v72
	v_mov_b32_e32 v95, v70
	v_mul_f32_e32 v96, 0xbf68dda4, v71
	v_add_f32_e32 v30, v32, v30
	v_fma_f32 v34, v62, s15, -v90
	v_fmac_f32_e32 v95, 0x3f575c64, v60
	v_mov_b32_e32 v71, v96
	v_add_f32_e32 v30, v34, v30
	v_fma_f32 v34, v64, s16, -v91
	v_add_f32_e32 v95, v32, v95
	v_fmac_f32_e32 v71, 0x3ed4b147, v62
	v_mul_f32_e32 v73, 0xbf7d64f0, v73
	v_add_f32_e32 v30, v34, v30
	v_fma_f32 v34, v66, s14, -v92
	v_add_f32_e32 v71, v71, v95
	v_mov_b32_e32 v95, v73
	v_add_f32_e32 v30, v34, v30
	v_fma_f32 v34, v68, s18, -v93
	v_fmac_f32_e32 v95, 0xbe11bafb, v64
	v_mul_f32_e32 v75, 0xbf4178ce, v75
	v_add_f32_e32 v30, v34, v30
	v_fma_f32 v34, v60, s18, -v70
	v_add_f32_e32 v71, v95, v71
	v_mov_b32_e32 v95, v75
	v_fmac_f32_e32 v94, 0xbf0a6770, v61
	v_add_f32_e32 v32, v32, v34
	v_fma_f32 v34, v62, s17, -v96
	v_fmac_f32_e32 v95, 0xbf27a4f4, v66
	v_mul_f32_e32 v77, 0xbe903f40, v77
	v_add_f32_e32 v33, v33, v94
	v_fmac_f32_e32 v74, 0xbf68dda4, v63
	v_add_f32_e32 v32, v34, v32
	v_fma_f32 v34, v64, s14, -v73
	v_add_f32_e32 v71, v95, v71
	v_mov_b32_e32 v95, v77
	v_add_f32_e32 v33, v74, v33
	v_fmac_f32_e32 v76, 0xbf7d64f0, v65
	v_add_f32_e32 v32, v34, v32
	v_fma_f32 v34, v66, s15, -v75
	v_mov_b32_e32 v132, v131
	v_fmac_f32_e32 v95, 0xbf75a155, v68
	v_add_f32_e32 v1, v48, v1
	v_add_f32_e32 v0, v47, v0
	;; [unrolled: 1-line block ×3, first 2 shown]
	v_fmac_f32_e32 v78, 0xbf4178ce, v67
	v_add_f32_e32 v32, v34, v32
	v_fma_f32 v34, v68, s16, -v77
	v_fmac_f32_e32 v132, 0xbe11bafb, v68
	v_add_f32_e32 v71, v95, v71
	v_add_f32_e32 v1, v46, v1
	;; [unrolled: 1-line block ×4, first 2 shown]
	v_fmac_f32_e32 v80, 0xbe903f40, v69
	v_add_f32_e32 v32, v34, v32
	v_lshl_add_u32 v34, v55, 3, v54
	v_add_f32_e32 v100, v132, v100
	v_add_f32_e32 v33, v80, v33
	ds_write2_b64 v34, v[0:1], v[71:72] offset1:1
	ds_write2_b64 v34, v[84:85], v[82:83] offset0:2 offset1:3
	ds_write2_b64 v34, v[98:99], v[100:101] offset0:4 offset1:5
	;; [unrolled: 1-line block ×4, first 2 shown]
	ds_write_b64 v34, v[32:33] offset:80
.LBB0_17:
	s_or_b64 exec, exec, s[4:5]
	s_waitcnt lgkmcnt(0)
	s_barrier
	ds_read2_b64 v[28:31], v56 offset1:33
	ds_read2_b64 v[32:35], v56 offset0:66 offset1:99
	ds_read2_b64 v[36:39], v56 offset0:132 offset1:165
	ds_read_b64 v[0:1], v56 offset:1584
	s_mov_b32 s5, 0x3f3bfb3b
	s_waitcnt lgkmcnt(3)
	v_mul_f32_e32 v40, v13, v31
	v_mul_f32_e32 v13, v13, v30
	v_fmac_f32_e32 v40, v12, v30
	v_fma_f32 v12, v12, v31, -v13
	s_waitcnt lgkmcnt(2)
	v_mul_f32_e32 v13, v15, v33
	v_mul_f32_e32 v15, v15, v32
	v_fmac_f32_e32 v13, v14, v32
	v_fma_f32 v14, v14, v33, -v15
	v_mul_f32_e32 v15, v9, v35
	v_mul_f32_e32 v9, v9, v34
	v_fmac_f32_e32 v15, v8, v34
	v_fma_f32 v8, v8, v35, -v9
	s_waitcnt lgkmcnt(1)
	v_mul_f32_e32 v9, v11, v37
	v_mul_f32_e32 v11, v11, v36
	v_fmac_f32_e32 v9, v10, v36
	v_fma_f32 v10, v10, v37, -v11
	v_mul_f32_e32 v11, v5, v39
	v_mul_f32_e32 v5, v5, v38
	v_fmac_f32_e32 v11, v4, v38
	v_fma_f32 v4, v4, v39, -v5
	s_waitcnt lgkmcnt(0)
	v_mul_f32_e32 v5, v7, v1
	v_fmac_f32_e32 v5, v6, v0
	v_mul_f32_e32 v0, v7, v0
	v_fma_f32 v0, v6, v1, -v0
	v_add_f32_e32 v1, v40, v5
	v_add_f32_e32 v7, v13, v11
	;; [unrolled: 1-line block ×3, first 2 shown]
	v_sub_f32_e32 v0, v12, v0
	v_add_f32_e32 v12, v14, v4
	v_sub_f32_e32 v11, v13, v11
	v_sub_f32_e32 v4, v14, v4
	v_add_f32_e32 v13, v15, v9
	v_add_f32_e32 v14, v8, v10
	v_sub_f32_e32 v8, v10, v8
	v_add_f32_e32 v10, v7, v1
	v_sub_f32_e32 v9, v9, v15
	v_add_f32_e32 v15, v12, v6
	v_add_f32_e32 v10, v13, v10
	v_sub_f32_e32 v5, v40, v5
	v_sub_f32_e32 v30, v7, v1
	;; [unrolled: 1-line block ×4, first 2 shown]
	v_add_f32_e32 v32, v9, v11
	v_add_f32_e32 v33, v8, v4
	v_sub_f32_e32 v35, v8, v4
	v_sub_f32_e32 v36, v4, v0
	v_add_f32_e32 v13, v14, v15
	v_add_f32_e32 v4, v28, v10
	v_sub_f32_e32 v31, v12, v6
	v_sub_f32_e32 v6, v6, v14
	v_sub_f32_e32 v12, v14, v12
	v_sub_f32_e32 v34, v9, v11
	v_sub_f32_e32 v9, v5, v9
	v_sub_f32_e32 v11, v11, v5
	v_add_f32_e32 v14, v32, v5
	v_add_f32_e32 v5, v29, v13
	v_mul_f32_e32 v32, 0x3f08b237, v35
	v_mov_b32_e32 v35, v4
	v_mul_f32_e32 v15, 0x3d64c772, v7
	v_mul_f32_e32 v28, 0x3d64c772, v12
	v_fmac_f32_e32 v35, 0xbf955555, v10
	v_mov_b32_e32 v10, v5
	v_mul_f32_e32 v1, 0x3f4a47b2, v1
	v_mul_f32_e32 v6, 0x3f4a47b2, v6
	;; [unrolled: 1-line block ×3, first 2 shown]
	s_mov_b32 s4, 0xbf5ff5aa
	v_fmac_f32_e32 v10, 0xbf955555, v13
	v_fma_f32 v13, v30, s5, -v15
	v_fma_f32 v15, v31, s5, -v28
	s_mov_b32 s5, 0xbf3bfb3b
	v_sub_f32_e32 v8, v0, v8
	v_add_f32_e32 v0, v33, v0
	v_mul_f32_e32 v33, 0xbf5ff5aa, v11
	v_mul_f32_e32 v34, 0xbf5ff5aa, v36
	v_fma_f32 v28, v30, s5, -v1
	v_fmac_f32_e32 v1, 0x3d64c772, v7
	v_fma_f32 v7, v31, s5, -v6
	v_fmac_f32_e32 v6, 0x3d64c772, v12
	v_fma_f32 v30, v11, s4, -v29
	v_fma_f32 v12, v36, s4, -v32
	s_mov_b32 s4, 0x3eae86e6
	v_fmac_f32_e32 v29, 0xbeae86e6, v9
	v_fmac_f32_e32 v32, 0xbeae86e6, v8
	v_fma_f32 v31, v9, s4, -v33
	v_fma_f32 v33, v8, s4, -v34
	v_add_f32_e32 v1, v1, v35
	v_add_f32_e32 v34, v6, v10
	;; [unrolled: 1-line block ×6, first 2 shown]
	v_fmac_f32_e32 v29, 0xbee1c552, v14
	v_fmac_f32_e32 v32, 0xbee1c552, v0
	;; [unrolled: 1-line block ×6, first 2 shown]
	v_add_f32_e32 v6, v32, v1
	v_sub_f32_e32 v7, v34, v29
	v_add_f32_e32 v8, v33, v28
	v_sub_f32_e32 v9, v35, v31
	v_sub_f32_e32 v10, v13, v12
	v_add_f32_e32 v11, v30, v15
	v_add_f32_e32 v12, v12, v13
	v_sub_f32_e32 v13, v15, v30
	v_sub_f32_e32 v14, v28, v33
	v_add_f32_e32 v15, v31, v35
	v_sub_f32_e32 v0, v1, v32
	v_add_f32_e32 v1, v29, v34
	s_barrier
	ds_write2_b64 v58, v[4:5], v[6:7] offset1:11
	ds_write2_b64 v58, v[8:9], v[10:11] offset0:22 offset1:33
	ds_write2_b64 v58, v[12:13], v[14:15] offset0:44 offset1:55
	ds_write_b64 v58, v[0:1] offset:528
	s_waitcnt lgkmcnt(0)
	s_barrier
	ds_read2_b64 v[4:7], v56 offset1:33
	ds_read2_b64 v[12:15], v56 offset0:77 offset1:110
	ds_read2_b64 v[8:11], v56 offset0:154 offset1:187
	v_add_u32_e32 v28, 0x108, v59
	s_and_saveexec_b64 s[4:5], s[2:3]
	s_cbranch_execz .LBB0_19
; %bb.18:
	ds_read2_b64 v[0:3], v56 offset0:66 offset1:143
	ds_read_b64 v[49:50], v56 offset:1760
.LBB0_19:
	s_or_b64 exec, exec, s[4:5]
	s_waitcnt lgkmcnt(1)
	v_mul_f32_e32 v29, v21, v13
	v_fmac_f32_e32 v29, v20, v12
	v_mul_f32_e32 v12, v21, v12
	v_fma_f32 v12, v20, v13, -v12
	s_waitcnt lgkmcnt(0)
	v_mul_f32_e32 v13, v23, v9
	v_fmac_f32_e32 v13, v22, v8
	v_mul_f32_e32 v8, v23, v8
	v_fma_f32 v20, v22, v9, -v8
	v_mul_f32_e32 v8, v25, v14
	v_mul_f32_e32 v21, v25, v15
	v_fma_f32 v15, v24, v15, -v8
	v_mul_f32_e32 v8, v27, v10
	v_add_f32_e32 v9, v29, v13
	v_mul_f32_e32 v22, v27, v11
	v_fma_f32 v23, v26, v11, -v8
	v_add_f32_e32 v8, v4, v29
	v_fma_f32 v4, -0.5, v9, v4
	v_fmac_f32_e32 v22, v26, v10
	v_sub_f32_e32 v9, v12, v20
	v_mov_b32_e32 v10, v4
	v_add_f32_e32 v11, v12, v20
	v_fmac_f32_e32 v21, v24, v14
	v_fmac_f32_e32 v10, 0xbf5db3d7, v9
	;; [unrolled: 1-line block ×3, first 2 shown]
	v_add_f32_e32 v9, v5, v12
	v_fma_f32 v5, -0.5, v11, v5
	v_add_f32_e32 v8, v8, v13
	v_sub_f32_e32 v12, v29, v13
	v_mov_b32_e32 v11, v5
	v_add_f32_e32 v13, v21, v22
	v_fmac_f32_e32 v11, 0x3f5db3d7, v12
	v_fmac_f32_e32 v5, 0xbf5db3d7, v12
	v_add_f32_e32 v12, v6, v21
	v_fma_f32 v6, -0.5, v13, v6
	v_sub_f32_e32 v13, v15, v23
	v_mov_b32_e32 v14, v6
	v_fmac_f32_e32 v14, 0xbf5db3d7, v13
	v_fmac_f32_e32 v6, 0x3f5db3d7, v13
	v_add_f32_e32 v13, v7, v15
	v_add_f32_e32 v15, v15, v23
	v_fmac_f32_e32 v7, -0.5, v15
	v_add_f32_e32 v9, v9, v20
	v_sub_f32_e32 v20, v21, v22
	v_mov_b32_e32 v15, v7
	v_add_f32_e32 v12, v12, v22
	v_add_f32_e32 v13, v13, v23
	v_fmac_f32_e32 v15, 0x3f5db3d7, v20
	v_fmac_f32_e32 v7, 0xbf5db3d7, v20
	ds_write2_b64 v57, v[10:11], v[4:5] offset0:77 offset1:154
	ds_write2_b64 v57, v[8:9], v[12:13] offset1:33
	ds_write2_b64 v28, v[14:15], v[6:7] offset0:77 offset1:154
	v_lshl_add_u32 v4, v53, 3, v51
	s_and_saveexec_b64 s[4:5], s[2:3]
	s_cbranch_execz .LBB0_21
; %bb.20:
	v_mul_f32_e32 v5, v17, v2
	v_fma_f32 v7, v16, v3, -v5
	v_mul_f32_e32 v5, v19, v49
	v_fma_f32 v9, v18, v50, -v5
	v_add_f32_e32 v5, v7, v9
	v_mul_f32_e32 v3, v17, v3
	v_mul_f32_e32 v10, v19, v50
	v_fma_f32 v6, -0.5, v5, v1
	v_fmac_f32_e32 v3, v16, v2
	v_fmac_f32_e32 v10, v18, v49
	v_add_f32_e32 v1, v1, v7
	v_sub_f32_e32 v5, v3, v10
	v_mov_b32_e32 v2, v6
	v_add_f32_e32 v8, v1, v9
	v_add_f32_e32 v1, v3, v10
	v_fmac_f32_e32 v2, 0xbf5db3d7, v5
	v_fmac_f32_e32 v6, 0x3f5db3d7, v5
	v_fma_f32 v5, -0.5, v1, v0
	v_sub_f32_e32 v7, v7, v9
	v_mov_b32_e32 v1, v5
	v_add_f32_e32 v0, v0, v3
	v_fmac_f32_e32 v1, 0x3f5db3d7, v7
	v_fmac_f32_e32 v5, 0xbf5db3d7, v7
	v_add_f32_e32 v7, v0, v10
	ds_write2_b64 v4, v[7:8], v[5:6] offset0:66 offset1:143
	ds_write_b64 v4, v[1:2] offset:1760
.LBB0_21:
	s_or_b64 exec, exec, s[4:5]
	s_waitcnt lgkmcnt(0)
	s_barrier
	s_and_b64 exec, exec, s[0:1]
	s_cbranch_execz .LBB0_23
; %bb.22:
	global_load_dwordx2 v[9:10], v51, s[6:7]
	global_load_dwordx2 v[11:12], v51, s[6:7] offset:168
	global_load_dwordx2 v[13:14], v51, s[6:7] offset:336
	;; [unrolled: 1-line block ×4, first 2 shown]
	ds_read_b64 v[21:22], v57
	ds_read2_b64 v[0:3], v4 offset0:21 offset1:42
	ds_read2_b64 v[5:8], v4 offset0:63 offset1:84
	global_load_dwordx2 v[25:26], v51, s[6:7] offset:840
	global_load_dwordx2 v[27:28], v51, s[6:7] offset:1008
	global_load_dwordx2 v[29:30], v51, s[6:7] offset:1176
	v_mad_u64_u32 v[19:20], s[0:1], s10, v44, 0
	v_mad_u64_u32 v[23:24], s[2:3], s8, v52, 0
	s_mul_i32 s3, s9, 0xa8
	s_mul_hi_u32 s4, s8, 0xa8
	s_add_i32 s3, s4, s3
	s_waitcnt lgkmcnt(2)
	v_mad_u64_u32 v[31:32], s[4:5], s11, v44, v[20:21]
	v_mov_b32_e32 v34, s13
	s_mul_i32 s2, s8, 0xa8
	v_mov_b32_e32 v20, v31
	v_lshlrev_b64 v[19:20], 3, v[19:20]
	v_mov_b32_e32 v35, s3
	v_add_co_u32_e32 v19, vcc, s12, v19
	v_addc_co_u32_e32 v20, vcc, v34, v20, vcc
	s_mov_b32 s0, 0x4046ed29
	s_mov_b32 s1, 0x3f71bb4a
	s_waitcnt vmcnt(6) lgkmcnt(1)
	v_mul_f32_e32 v34, v1, v12
	v_mul_f32_e32 v12, v0, v12
	s_waitcnt vmcnt(4) lgkmcnt(0)
	v_mul_f32_e32 v36, v6, v16
	v_mul_f32_e32 v16, v5, v16
	s_waitcnt vmcnt(3)
	v_mul_f32_e32 v37, v8, v18
	s_waitcnt vmcnt(2)
	v_mad_u64_u32 v[32:33], s[4:5], s9, v52, v[24:25]
	v_mov_b32_e32 v33, s3
	v_mul_f32_e32 v18, v7, v18
	v_mov_b32_e32 v24, v32
	v_lshlrev_b64 v[23:24], 3, v[23:24]
	v_fmac_f32_e32 v34, v0, v11
	v_add_co_u32_e32 v19, vcc, v19, v23
	v_addc_co_u32_e32 v20, vcc, v20, v24, vcc
	v_add_co_u32_e32 v23, vcc, s2, v19
	v_addc_co_u32_e32 v24, vcc, v20, v33, vcc
	v_add_co_u32_e32 v31, vcc, s2, v23
	v_mul_f32_e32 v33, v22, v10
	v_mul_f32_e32 v10, v21, v10
	v_addc_co_u32_e32 v32, vcc, v24, v35, vcc
	v_mul_f32_e32 v35, v3, v14
	v_mul_f32_e32 v14, v2, v14
	v_fmac_f32_e32 v33, v21, v9
	v_fma_f32 v9, v9, v22, -v10
	v_fma_f32 v10, v11, v1, -v12
	v_fmac_f32_e32 v35, v2, v13
	v_fma_f32 v11, v13, v3, -v14
	v_cvt_f64_f32_e32 v[0:1], v33
	v_cvt_f64_f32_e32 v[2:3], v9
	v_fmac_f32_e32 v36, v5, v15
	v_fma_f32 v15, v15, v6, -v16
	v_fmac_f32_e32 v37, v7, v17
	v_fma_f32 v38, v17, v8, -v18
	v_cvt_f64_f32_e32 v[5:6], v34
	v_cvt_f64_f32_e32 v[7:8], v10
	;; [unrolled: 1-line block ×4, first 2 shown]
	v_mul_f64 v[0:1], v[0:1], s[0:1]
	v_mul_f64 v[2:3], v[2:3], s[0:1]
	global_load_dwordx2 v[21:22], v51, s[6:7] offset:1344
	v_mul_f64 v[5:6], v[5:6], s[0:1]
	v_mul_f64 v[7:8], v[7:8], s[0:1]
	;; [unrolled: 1-line block ×4, first 2 shown]
	v_cvt_f64_f32_e32 v[15:16], v15
	v_cvt_f32_f64_e32 v0, v[0:1]
	v_cvt_f32_f64_e32 v1, v[2:3]
	v_cvt_f64_f32_e32 v[13:14], v36
	v_cvt_f32_f64_e32 v2, v[5:6]
	v_cvt_f32_f64_e32 v3, v[7:8]
	;; [unrolled: 1-line block ×4, first 2 shown]
	global_store_dwordx2 v[19:20], v[0:1], off
	global_store_dwordx2 v[23:24], v[2:3], off
	;; [unrolled: 1-line block ×3, first 2 shown]
	v_mul_f64 v[15:16], v[15:16], s[0:1]
	global_load_dwordx2 v[5:6], v51, s[6:7] offset:1512
	v_mul_f64 v[13:14], v[13:14], s[0:1]
	v_cvt_f64_f32_e32 v[0:1], v38
	v_cvt_f64_f32_e32 v[17:18], v37
	v_mul_f64 v[11:12], v[0:1], s[0:1]
	v_cvt_f32_f64_e32 v8, v[15:16]
	global_load_dwordx2 v[15:16], v51, s[6:7] offset:1680
	ds_read2_b64 v[0:3], v4 offset0:105 offset1:126
	v_cvt_f32_f64_e32 v7, v[13:14]
	v_mov_b32_e32 v14, s3
	v_add_co_u32_e32 v13, vcc, s2, v31
	v_addc_co_u32_e32 v14, vcc, v32, v14, vcc
	global_store_dwordx2 v[13:14], v[7:8], off
	s_waitcnt lgkmcnt(0)
	v_mul_f32_e32 v7, v1, v26
	v_fmac_f32_e32 v7, v0, v25
	v_cvt_f64_f32_e32 v[7:8], v7
	v_mul_f32_e32 v0, v0, v26
	v_fma_f32 v0, v25, v1, -v0
	v_mul_f64 v[9:10], v[17:18], s[0:1]
	v_mul_f64 v[7:8], v[7:8], s[0:1]
	v_cvt_f64_f32_e32 v[0:1], v0
	v_mov_b32_e32 v17, s3
	v_mul_f64 v[0:1], v[0:1], s[0:1]
	v_cvt_f32_f64_e32 v9, v[9:10]
	v_cvt_f32_f64_e32 v7, v[7:8]
	s_waitcnt vmcnt(8)
	v_mul_f32_e32 v8, v3, v28
	v_fmac_f32_e32 v8, v2, v27
	v_mul_f32_e32 v2, v2, v28
	v_fma_f32 v2, v27, v3, -v2
	v_cvt_f32_f64_e32 v10, v[11:12]
	v_cvt_f64_f32_e32 v[2:3], v2
	v_mov_b32_e32 v12, s3
	v_add_co_u32_e32 v11, vcc, s2, v13
	v_addc_co_u32_e32 v12, vcc, v14, v12, vcc
	global_store_dwordx2 v[11:12], v[9:10], off
	v_cvt_f64_f32_e32 v[9:10], v8
	v_cvt_f32_f64_e32 v8, v[0:1]
	v_mul_f64 v[13:14], v[2:3], s[0:1]
	ds_read2_b64 v[0:3], v4 offset0:147 offset1:168
	v_add_co_u32_e32 v11, vcc, s2, v11
	v_addc_co_u32_e32 v12, vcc, v12, v17, vcc
	global_store_dwordx2 v[11:12], v[7:8], off
	s_waitcnt vmcnt(9) lgkmcnt(0)
	v_mul_f32_e32 v7, v1, v30
	v_fmac_f32_e32 v7, v0, v29
	v_cvt_f64_f32_e32 v[7:8], v7
	v_mul_f64 v[9:10], v[9:10], s[0:1]
	v_mul_f32_e32 v0, v0, v30
	v_fma_f32 v0, v29, v1, -v0
	v_mul_f64 v[7:8], v[7:8], s[0:1]
	v_cvt_f64_f32_e32 v[0:1], v0
	v_add_co_u32_e32 v11, vcc, s2, v11
	v_mul_f64 v[0:1], v[0:1], s[0:1]
	v_cvt_f32_f64_e32 v9, v[9:10]
	v_cvt_f32_f64_e32 v10, v[13:14]
	;; [unrolled: 1-line block ×3, first 2 shown]
	s_waitcnt vmcnt(8)
	v_mul_f32_e32 v8, v3, v22
	v_mov_b32_e32 v13, s3
	v_fmac_f32_e32 v8, v2, v21
	v_mul_f32_e32 v2, v2, v22
	v_addc_co_u32_e32 v12, vcc, v12, v13, vcc
	v_fma_f32 v2, v21, v3, -v2
	global_store_dwordx2 v[11:12], v[9:10], off
	v_cvt_f64_f32_e32 v[9:10], v8
	v_cvt_f64_f32_e32 v[2:3], v2
	v_cvt_f32_f64_e32 v8, v[0:1]
	v_mov_b32_e32 v0, s3
	v_add_co_u32_e32 v11, vcc, s2, v11
	v_mul_f64 v[9:10], v[9:10], s[0:1]
	v_mul_f64 v[13:14], v[2:3], s[0:1]
	v_addc_co_u32_e32 v12, vcc, v12, v0, vcc
	ds_read2_b64 v[0:3], v4 offset0:189 offset1:210
	global_store_dwordx2 v[11:12], v[7:8], off
	v_cvt_f32_f64_e32 v7, v[9:10]
	s_waitcnt vmcnt(6) lgkmcnt(0)
	v_mul_f32_e32 v4, v1, v6
	v_fmac_f32_e32 v4, v0, v5
	v_mul_f32_e32 v0, v0, v6
	v_fma_f32 v0, v5, v1, -v0
	v_cvt_f32_f64_e32 v8, v[13:14]
	v_cvt_f64_f32_e32 v[9:10], v4
	v_cvt_f64_f32_e32 v[0:1], v0
	v_mov_b32_e32 v13, s3
	v_add_co_u32_e32 v4, vcc, s2, v11
	v_addc_co_u32_e32 v5, vcc, v12, v13, vcc
	global_store_dwordx2 v[4:5], v[7:8], off
	v_mul_f64 v[6:7], v[9:10], s[0:1]
	v_mul_f64 v[0:1], v[0:1], s[0:1]
	s_waitcnt vmcnt(6)
	v_mul_f32_e32 v8, v3, v16
	v_fmac_f32_e32 v8, v2, v15
	v_mul_f32_e32 v2, v2, v16
	v_fma_f32 v2, v15, v3, -v2
	v_cvt_f64_f32_e32 v[8:9], v8
	v_cvt_f64_f32_e32 v[2:3], v2
	v_cvt_f32_f64_e32 v6, v[6:7]
	v_cvt_f32_f64_e32 v7, v[0:1]
	v_mul_f64 v[0:1], v[8:9], s[0:1]
	v_mul_f64 v[2:3], v[2:3], s[0:1]
	v_mov_b32_e32 v8, s3
	v_add_co_u32_e32 v4, vcc, s2, v4
	v_addc_co_u32_e32 v5, vcc, v5, v8, vcc
	global_store_dwordx2 v[4:5], v[6:7], off
	v_cvt_f32_f64_e32 v0, v[0:1]
	v_cvt_f32_f64_e32 v1, v[2:3]
	v_mov_b32_e32 v3, s3
	v_add_co_u32_e32 v2, vcc, s2, v4
	v_addc_co_u32_e32 v3, vcc, v5, v3, vcc
	global_store_dwordx2 v[2:3], v[0:1], off
.LBB0_23:
	s_endpgm
	.section	.rodata,"a",@progbits
	.p2align	6, 0x0
	.amdhsa_kernel bluestein_single_back_len231_dim1_sp_op_CI_CI
		.amdhsa_group_segment_fixed_size 12936
		.amdhsa_private_segment_fixed_size 0
		.amdhsa_kernarg_size 104
		.amdhsa_user_sgpr_count 6
		.amdhsa_user_sgpr_private_segment_buffer 1
		.amdhsa_user_sgpr_dispatch_ptr 0
		.amdhsa_user_sgpr_queue_ptr 0
		.amdhsa_user_sgpr_kernarg_segment_ptr 1
		.amdhsa_user_sgpr_dispatch_id 0
		.amdhsa_user_sgpr_flat_scratch_init 0
		.amdhsa_user_sgpr_private_segment_size 0
		.amdhsa_uses_dynamic_stack 0
		.amdhsa_system_sgpr_private_segment_wavefront_offset 0
		.amdhsa_system_sgpr_workgroup_id_x 1
		.amdhsa_system_sgpr_workgroup_id_y 0
		.amdhsa_system_sgpr_workgroup_id_z 0
		.amdhsa_system_sgpr_workgroup_info 0
		.amdhsa_system_vgpr_workitem_id 0
		.amdhsa_next_free_vgpr 133
		.amdhsa_next_free_sgpr 19
		.amdhsa_reserve_vcc 1
		.amdhsa_reserve_flat_scratch 0
		.amdhsa_float_round_mode_32 0
		.amdhsa_float_round_mode_16_64 0
		.amdhsa_float_denorm_mode_32 3
		.amdhsa_float_denorm_mode_16_64 3
		.amdhsa_dx10_clamp 1
		.amdhsa_ieee_mode 1
		.amdhsa_fp16_overflow 0
		.amdhsa_exception_fp_ieee_invalid_op 0
		.amdhsa_exception_fp_denorm_src 0
		.amdhsa_exception_fp_ieee_div_zero 0
		.amdhsa_exception_fp_ieee_overflow 0
		.amdhsa_exception_fp_ieee_underflow 0
		.amdhsa_exception_fp_ieee_inexact 0
		.amdhsa_exception_int_div_zero 0
	.end_amdhsa_kernel
	.text
.Lfunc_end0:
	.size	bluestein_single_back_len231_dim1_sp_op_CI_CI, .Lfunc_end0-bluestein_single_back_len231_dim1_sp_op_CI_CI
                                        ; -- End function
	.section	.AMDGPU.csdata,"",@progbits
; Kernel info:
; codeLenInByte = 9524
; NumSgprs: 23
; NumVgprs: 133
; ScratchSize: 0
; MemoryBound: 0
; FloatMode: 240
; IeeeMode: 1
; LDSByteSize: 12936 bytes/workgroup (compile time only)
; SGPRBlocks: 2
; VGPRBlocks: 33
; NumSGPRsForWavesPerEU: 23
; NumVGPRsForWavesPerEU: 133
; Occupancy: 1
; WaveLimiterHint : 1
; COMPUTE_PGM_RSRC2:SCRATCH_EN: 0
; COMPUTE_PGM_RSRC2:USER_SGPR: 6
; COMPUTE_PGM_RSRC2:TRAP_HANDLER: 0
; COMPUTE_PGM_RSRC2:TGID_X_EN: 1
; COMPUTE_PGM_RSRC2:TGID_Y_EN: 0
; COMPUTE_PGM_RSRC2:TGID_Z_EN: 0
; COMPUTE_PGM_RSRC2:TIDIG_COMP_CNT: 0
	.type	__hip_cuid_fc3ddbe764e9d77b,@object ; @__hip_cuid_fc3ddbe764e9d77b
	.section	.bss,"aw",@nobits
	.globl	__hip_cuid_fc3ddbe764e9d77b
__hip_cuid_fc3ddbe764e9d77b:
	.byte	0                               ; 0x0
	.size	__hip_cuid_fc3ddbe764e9d77b, 1

	.ident	"AMD clang version 19.0.0git (https://github.com/RadeonOpenCompute/llvm-project roc-6.4.0 25133 c7fe45cf4b819c5991fe208aaa96edf142730f1d)"
	.section	".note.GNU-stack","",@progbits
	.addrsig
	.addrsig_sym __hip_cuid_fc3ddbe764e9d77b
	.amdgpu_metadata
---
amdhsa.kernels:
  - .args:
      - .actual_access:  read_only
        .address_space:  global
        .offset:         0
        .size:           8
        .value_kind:     global_buffer
      - .actual_access:  read_only
        .address_space:  global
        .offset:         8
        .size:           8
        .value_kind:     global_buffer
      - .actual_access:  read_only
        .address_space:  global
        .offset:         16
        .size:           8
        .value_kind:     global_buffer
      - .actual_access:  read_only
        .address_space:  global
        .offset:         24
        .size:           8
        .value_kind:     global_buffer
      - .actual_access:  read_only
        .address_space:  global
        .offset:         32
        .size:           8
        .value_kind:     global_buffer
      - .offset:         40
        .size:           8
        .value_kind:     by_value
      - .address_space:  global
        .offset:         48
        .size:           8
        .value_kind:     global_buffer
      - .address_space:  global
        .offset:         56
        .size:           8
        .value_kind:     global_buffer
      - .address_space:  global
        .offset:         64
        .size:           8
        .value_kind:     global_buffer
      - .address_space:  global
        .offset:         72
        .size:           8
        .value_kind:     global_buffer
      - .offset:         80
        .size:           4
        .value_kind:     by_value
      - .address_space:  global
        .offset:         88
        .size:           8
        .value_kind:     global_buffer
      - .address_space:  global
        .offset:         96
        .size:           8
        .value_kind:     global_buffer
    .group_segment_fixed_size: 12936
    .kernarg_segment_align: 8
    .kernarg_segment_size: 104
    .language:       OpenCL C
    .language_version:
      - 2
      - 0
    .max_flat_workgroup_size: 231
    .name:           bluestein_single_back_len231_dim1_sp_op_CI_CI
    .private_segment_fixed_size: 0
    .sgpr_count:     23
    .sgpr_spill_count: 0
    .symbol:         bluestein_single_back_len231_dim1_sp_op_CI_CI.kd
    .uniform_work_group_size: 1
    .uses_dynamic_stack: false
    .vgpr_count:     133
    .vgpr_spill_count: 0
    .wavefront_size: 64
amdhsa.target:   amdgcn-amd-amdhsa--gfx906
amdhsa.version:
  - 1
  - 2
...

	.end_amdgpu_metadata
